;; amdgpu-corpus repo=ROCm/rocFFT kind=compiled arch=gfx1100 opt=O3
	.text
	.amdgcn_target "amdgcn-amd-amdhsa--gfx1100"
	.amdhsa_code_object_version 6
	.protected	fft_rtc_back_len768_factors_16_3_16_wgs_48_tpt_48_halfLds_sp_ip_CI_unitstride_sbrr_R2C_dirReg ; -- Begin function fft_rtc_back_len768_factors_16_3_16_wgs_48_tpt_48_halfLds_sp_ip_CI_unitstride_sbrr_R2C_dirReg
	.globl	fft_rtc_back_len768_factors_16_3_16_wgs_48_tpt_48_halfLds_sp_ip_CI_unitstride_sbrr_R2C_dirReg
	.p2align	8
	.type	fft_rtc_back_len768_factors_16_3_16_wgs_48_tpt_48_halfLds_sp_ip_CI_unitstride_sbrr_R2C_dirReg,@function
fft_rtc_back_len768_factors_16_3_16_wgs_48_tpt_48_halfLds_sp_ip_CI_unitstride_sbrr_R2C_dirReg: ; @fft_rtc_back_len768_factors_16_3_16_wgs_48_tpt_48_halfLds_sp_ip_CI_unitstride_sbrr_R2C_dirReg
; %bb.0:
	s_clause 0x2
	s_load_b128 s[4:7], s[0:1], 0x0
	s_load_b64 s[8:9], s[0:1], 0x50
	s_load_b64 s[10:11], s[0:1], 0x18
	v_mul_u32_u24_e32 v1, 0x556, v0
	v_mov_b32_e32 v3, 0
	v_mov_b32_e32 v4, 0
	s_delay_alu instid0(VALU_DEP_3) | instskip(SKIP_1) | instid1(VALU_DEP_1)
	v_lshrrev_b32_e32 v2, 16, v1
	v_mov_b32_e32 v1, 0
	v_dual_mov_b32 v6, v1 :: v_dual_add_nc_u32 v5, s15, v2
	s_waitcnt lgkmcnt(0)
	v_cmp_lt_u64_e64 s2, s[6:7], 2
	s_delay_alu instid0(VALU_DEP_1)
	s_and_b32 vcc_lo, exec_lo, s2
	s_cbranch_vccnz .LBB0_8
; %bb.1:
	s_load_b64 s[2:3], s[0:1], 0x10
	v_mov_b32_e32 v3, 0
	s_add_u32 s12, s10, 8
	v_mov_b32_e32 v4, 0
	s_addc_u32 s13, s11, 0
	s_mov_b64 s[16:17], 1
	s_waitcnt lgkmcnt(0)
	s_add_u32 s14, s2, 8
	s_addc_u32 s15, s3, 0
.LBB0_2:                                ; =>This Inner Loop Header: Depth=1
	s_load_b64 s[18:19], s[14:15], 0x0
                                        ; implicit-def: $vgpr7_vgpr8
	s_mov_b32 s2, exec_lo
	s_waitcnt lgkmcnt(0)
	v_or_b32_e32 v2, s19, v6
	s_delay_alu instid0(VALU_DEP_1)
	v_cmpx_ne_u64_e32 0, v[1:2]
	s_xor_b32 s3, exec_lo, s2
	s_cbranch_execz .LBB0_4
; %bb.3:                                ;   in Loop: Header=BB0_2 Depth=1
	v_cvt_f32_u32_e32 v2, s18
	v_cvt_f32_u32_e32 v7, s19
	s_sub_u32 s2, 0, s18
	s_subb_u32 s20, 0, s19
	s_delay_alu instid0(VALU_DEP_1) | instskip(NEXT) | instid1(VALU_DEP_1)
	v_fmac_f32_e32 v2, 0x4f800000, v7
	v_rcp_f32_e32 v2, v2
	s_waitcnt_depctr 0xfff
	v_mul_f32_e32 v2, 0x5f7ffffc, v2
	s_delay_alu instid0(VALU_DEP_1) | instskip(NEXT) | instid1(VALU_DEP_1)
	v_mul_f32_e32 v7, 0x2f800000, v2
	v_trunc_f32_e32 v7, v7
	s_delay_alu instid0(VALU_DEP_1) | instskip(SKIP_1) | instid1(VALU_DEP_2)
	v_fmac_f32_e32 v2, 0xcf800000, v7
	v_cvt_u32_f32_e32 v7, v7
	v_cvt_u32_f32_e32 v2, v2
	s_delay_alu instid0(VALU_DEP_2) | instskip(NEXT) | instid1(VALU_DEP_2)
	v_mul_lo_u32 v8, s2, v7
	v_mul_hi_u32 v9, s2, v2
	v_mul_lo_u32 v10, s20, v2
	s_delay_alu instid0(VALU_DEP_2) | instskip(SKIP_1) | instid1(VALU_DEP_2)
	v_add_nc_u32_e32 v8, v9, v8
	v_mul_lo_u32 v9, s2, v2
	v_add_nc_u32_e32 v8, v8, v10
	s_delay_alu instid0(VALU_DEP_2) | instskip(NEXT) | instid1(VALU_DEP_2)
	v_mul_hi_u32 v10, v2, v9
	v_mul_lo_u32 v11, v2, v8
	v_mul_hi_u32 v12, v2, v8
	v_mul_hi_u32 v13, v7, v9
	v_mul_lo_u32 v9, v7, v9
	v_mul_hi_u32 v14, v7, v8
	v_mul_lo_u32 v8, v7, v8
	v_add_co_u32 v10, vcc_lo, v10, v11
	v_add_co_ci_u32_e32 v11, vcc_lo, 0, v12, vcc_lo
	s_delay_alu instid0(VALU_DEP_2) | instskip(NEXT) | instid1(VALU_DEP_2)
	v_add_co_u32 v9, vcc_lo, v10, v9
	v_add_co_ci_u32_e32 v9, vcc_lo, v11, v13, vcc_lo
	v_add_co_ci_u32_e32 v10, vcc_lo, 0, v14, vcc_lo
	s_delay_alu instid0(VALU_DEP_2) | instskip(NEXT) | instid1(VALU_DEP_2)
	v_add_co_u32 v8, vcc_lo, v9, v8
	v_add_co_ci_u32_e32 v9, vcc_lo, 0, v10, vcc_lo
	s_delay_alu instid0(VALU_DEP_2) | instskip(NEXT) | instid1(VALU_DEP_2)
	v_add_co_u32 v2, vcc_lo, v2, v8
	v_add_co_ci_u32_e32 v7, vcc_lo, v7, v9, vcc_lo
	s_delay_alu instid0(VALU_DEP_2) | instskip(SKIP_1) | instid1(VALU_DEP_3)
	v_mul_hi_u32 v8, s2, v2
	v_mul_lo_u32 v10, s20, v2
	v_mul_lo_u32 v9, s2, v7
	s_delay_alu instid0(VALU_DEP_1) | instskip(SKIP_1) | instid1(VALU_DEP_2)
	v_add_nc_u32_e32 v8, v8, v9
	v_mul_lo_u32 v9, s2, v2
	v_add_nc_u32_e32 v8, v8, v10
	s_delay_alu instid0(VALU_DEP_2) | instskip(NEXT) | instid1(VALU_DEP_2)
	v_mul_hi_u32 v10, v2, v9
	v_mul_lo_u32 v11, v2, v8
	v_mul_hi_u32 v12, v2, v8
	v_mul_hi_u32 v13, v7, v9
	v_mul_lo_u32 v9, v7, v9
	v_mul_hi_u32 v14, v7, v8
	v_mul_lo_u32 v8, v7, v8
	v_add_co_u32 v10, vcc_lo, v10, v11
	v_add_co_ci_u32_e32 v11, vcc_lo, 0, v12, vcc_lo
	s_delay_alu instid0(VALU_DEP_2) | instskip(NEXT) | instid1(VALU_DEP_2)
	v_add_co_u32 v9, vcc_lo, v10, v9
	v_add_co_ci_u32_e32 v9, vcc_lo, v11, v13, vcc_lo
	v_add_co_ci_u32_e32 v10, vcc_lo, 0, v14, vcc_lo
	s_delay_alu instid0(VALU_DEP_2) | instskip(NEXT) | instid1(VALU_DEP_2)
	v_add_co_u32 v8, vcc_lo, v9, v8
	v_add_co_ci_u32_e32 v9, vcc_lo, 0, v10, vcc_lo
	s_delay_alu instid0(VALU_DEP_2) | instskip(NEXT) | instid1(VALU_DEP_2)
	v_add_co_u32 v2, vcc_lo, v2, v8
	v_add_co_ci_u32_e32 v13, vcc_lo, v7, v9, vcc_lo
	s_delay_alu instid0(VALU_DEP_2) | instskip(SKIP_1) | instid1(VALU_DEP_3)
	v_mul_hi_u32 v14, v5, v2
	v_mad_u64_u32 v[9:10], null, v6, v2, 0
	v_mad_u64_u32 v[7:8], null, v5, v13, 0
	;; [unrolled: 1-line block ×3, first 2 shown]
	s_delay_alu instid0(VALU_DEP_2) | instskip(NEXT) | instid1(VALU_DEP_3)
	v_add_co_u32 v2, vcc_lo, v14, v7
	v_add_co_ci_u32_e32 v7, vcc_lo, 0, v8, vcc_lo
	s_delay_alu instid0(VALU_DEP_2) | instskip(NEXT) | instid1(VALU_DEP_2)
	v_add_co_u32 v2, vcc_lo, v2, v9
	v_add_co_ci_u32_e32 v2, vcc_lo, v7, v10, vcc_lo
	v_add_co_ci_u32_e32 v7, vcc_lo, 0, v12, vcc_lo
	s_delay_alu instid0(VALU_DEP_2) | instskip(NEXT) | instid1(VALU_DEP_2)
	v_add_co_u32 v2, vcc_lo, v2, v11
	v_add_co_ci_u32_e32 v9, vcc_lo, 0, v7, vcc_lo
	s_delay_alu instid0(VALU_DEP_2) | instskip(SKIP_1) | instid1(VALU_DEP_3)
	v_mul_lo_u32 v10, s19, v2
	v_mad_u64_u32 v[7:8], null, s18, v2, 0
	v_mul_lo_u32 v11, s18, v9
	s_delay_alu instid0(VALU_DEP_2) | instskip(NEXT) | instid1(VALU_DEP_2)
	v_sub_co_u32 v7, vcc_lo, v5, v7
	v_add3_u32 v8, v8, v11, v10
	s_delay_alu instid0(VALU_DEP_1) | instskip(NEXT) | instid1(VALU_DEP_1)
	v_sub_nc_u32_e32 v10, v6, v8
	v_subrev_co_ci_u32_e64 v10, s2, s19, v10, vcc_lo
	v_add_co_u32 v11, s2, v2, 2
	s_delay_alu instid0(VALU_DEP_1) | instskip(SKIP_3) | instid1(VALU_DEP_3)
	v_add_co_ci_u32_e64 v12, s2, 0, v9, s2
	v_sub_co_u32 v13, s2, v7, s18
	v_sub_co_ci_u32_e32 v8, vcc_lo, v6, v8, vcc_lo
	v_subrev_co_ci_u32_e64 v10, s2, 0, v10, s2
	v_cmp_le_u32_e32 vcc_lo, s18, v13
	s_delay_alu instid0(VALU_DEP_3) | instskip(SKIP_1) | instid1(VALU_DEP_4)
	v_cmp_eq_u32_e64 s2, s19, v8
	v_cndmask_b32_e64 v13, 0, -1, vcc_lo
	v_cmp_le_u32_e32 vcc_lo, s19, v10
	v_cndmask_b32_e64 v14, 0, -1, vcc_lo
	v_cmp_le_u32_e32 vcc_lo, s18, v7
	;; [unrolled: 2-line block ×3, first 2 shown]
	v_cndmask_b32_e64 v15, 0, -1, vcc_lo
	v_cmp_eq_u32_e32 vcc_lo, s19, v10
	s_delay_alu instid0(VALU_DEP_2) | instskip(SKIP_3) | instid1(VALU_DEP_3)
	v_cndmask_b32_e64 v7, v15, v7, s2
	v_cndmask_b32_e32 v10, v14, v13, vcc_lo
	v_add_co_u32 v13, vcc_lo, v2, 1
	v_add_co_ci_u32_e32 v14, vcc_lo, 0, v9, vcc_lo
	v_cmp_ne_u32_e32 vcc_lo, 0, v10
	s_delay_alu instid0(VALU_DEP_2) | instskip(NEXT) | instid1(VALU_DEP_4)
	v_cndmask_b32_e32 v8, v14, v12, vcc_lo
	v_cndmask_b32_e32 v10, v13, v11, vcc_lo
	v_cmp_ne_u32_e32 vcc_lo, 0, v7
	s_delay_alu instid0(VALU_DEP_2)
	v_dual_cndmask_b32 v7, v2, v10 :: v_dual_cndmask_b32 v8, v9, v8
.LBB0_4:                                ;   in Loop: Header=BB0_2 Depth=1
	s_and_not1_saveexec_b32 s2, s3
	s_cbranch_execz .LBB0_6
; %bb.5:                                ;   in Loop: Header=BB0_2 Depth=1
	v_cvt_f32_u32_e32 v2, s18
	s_sub_i32 s3, 0, s18
	s_delay_alu instid0(VALU_DEP_1) | instskip(SKIP_2) | instid1(VALU_DEP_1)
	v_rcp_iflag_f32_e32 v2, v2
	s_waitcnt_depctr 0xfff
	v_mul_f32_e32 v2, 0x4f7ffffe, v2
	v_cvt_u32_f32_e32 v2, v2
	s_delay_alu instid0(VALU_DEP_1) | instskip(NEXT) | instid1(VALU_DEP_1)
	v_mul_lo_u32 v7, s3, v2
	v_mul_hi_u32 v7, v2, v7
	s_delay_alu instid0(VALU_DEP_1) | instskip(NEXT) | instid1(VALU_DEP_1)
	v_add_nc_u32_e32 v2, v2, v7
	v_mul_hi_u32 v2, v5, v2
	s_delay_alu instid0(VALU_DEP_1) | instskip(SKIP_1) | instid1(VALU_DEP_2)
	v_mul_lo_u32 v7, v2, s18
	v_add_nc_u32_e32 v8, 1, v2
	v_sub_nc_u32_e32 v7, v5, v7
	s_delay_alu instid0(VALU_DEP_1) | instskip(SKIP_1) | instid1(VALU_DEP_2)
	v_subrev_nc_u32_e32 v9, s18, v7
	v_cmp_le_u32_e32 vcc_lo, s18, v7
	v_dual_cndmask_b32 v7, v7, v9 :: v_dual_cndmask_b32 v2, v2, v8
	s_delay_alu instid0(VALU_DEP_1) | instskip(NEXT) | instid1(VALU_DEP_2)
	v_cmp_le_u32_e32 vcc_lo, s18, v7
	v_add_nc_u32_e32 v8, 1, v2
	s_delay_alu instid0(VALU_DEP_1)
	v_dual_cndmask_b32 v7, v2, v8 :: v_dual_mov_b32 v8, v1
.LBB0_6:                                ;   in Loop: Header=BB0_2 Depth=1
	s_or_b32 exec_lo, exec_lo, s2
	s_load_b64 s[2:3], s[12:13], 0x0
	s_delay_alu instid0(VALU_DEP_1) | instskip(NEXT) | instid1(VALU_DEP_2)
	v_mul_lo_u32 v2, v8, s18
	v_mul_lo_u32 v11, v7, s19
	v_mad_u64_u32 v[9:10], null, v7, s18, 0
	s_add_u32 s16, s16, 1
	s_addc_u32 s17, s17, 0
	s_add_u32 s12, s12, 8
	s_addc_u32 s13, s13, 0
	;; [unrolled: 2-line block ×3, first 2 shown]
	s_delay_alu instid0(VALU_DEP_1) | instskip(SKIP_1) | instid1(VALU_DEP_2)
	v_add3_u32 v2, v10, v11, v2
	v_sub_co_u32 v9, vcc_lo, v5, v9
	v_sub_co_ci_u32_e32 v2, vcc_lo, v6, v2, vcc_lo
	s_waitcnt lgkmcnt(0)
	s_delay_alu instid0(VALU_DEP_2) | instskip(NEXT) | instid1(VALU_DEP_2)
	v_mul_lo_u32 v10, s3, v9
	v_mul_lo_u32 v2, s2, v2
	v_mad_u64_u32 v[5:6], null, s2, v9, v[3:4]
	v_cmp_ge_u64_e64 s2, s[16:17], s[6:7]
	s_delay_alu instid0(VALU_DEP_1) | instskip(NEXT) | instid1(VALU_DEP_2)
	s_and_b32 vcc_lo, exec_lo, s2
	v_add3_u32 v4, v10, v6, v2
	s_delay_alu instid0(VALU_DEP_3)
	v_mov_b32_e32 v3, v5
	s_cbranch_vccnz .LBB0_9
; %bb.7:                                ;   in Loop: Header=BB0_2 Depth=1
	v_dual_mov_b32 v5, v7 :: v_dual_mov_b32 v6, v8
	s_branch .LBB0_2
.LBB0_8:
	v_dual_mov_b32 v8, v6 :: v_dual_mov_b32 v7, v5
.LBB0_9:
	s_lshl_b64 s[2:3], s[6:7], 3
	v_mul_hi_u32 v1, 0x5555556, v0
	s_add_u32 s2, s10, s2
	s_addc_u32 s3, s11, s3
	s_load_b64 s[0:1], s[0:1], 0x20
	s_load_b64 s[2:3], s[2:3], 0x0
	s_delay_alu instid0(VALU_DEP_1) | instskip(NEXT) | instid1(VALU_DEP_1)
	v_mul_u32_u24_e32 v1, 48, v1
	v_sub_nc_u32_e32 v24, v0, v1
	s_delay_alu instid0(VALU_DEP_1)
	v_add_nc_u32_e32 v26, 48, v24
	v_add_nc_u32_e32 v35, 0x60, v24
	;; [unrolled: 1-line block ×3, first 2 shown]
	v_or_b32_e32 v33, 0xc0, v24
	v_add_nc_u32_e32 v32, 0xf0, v24
	s_waitcnt lgkmcnt(0)
	v_cmp_gt_u64_e32 vcc_lo, s[0:1], v[7:8]
	v_mul_lo_u32 v2, s2, v8
	v_mul_lo_u32 v5, s3, v7
	v_mad_u64_u32 v[0:1], null, s2, v7, v[3:4]
	v_cmp_le_u64_e64 s0, s[0:1], v[7:8]
	s_delay_alu instid0(VALU_DEP_2) | instskip(NEXT) | instid1(VALU_DEP_2)
	v_add3_u32 v1, v5, v1, v2
	s_and_saveexec_b32 s1, s0
	s_delay_alu instid0(SALU_CYCLE_1)
	s_xor_b32 s0, exec_lo, s1
; %bb.10:
	v_add_nc_u32_e32 v26, 48, v24
	v_add_nc_u32_e32 v35, 0x60, v24
	;; [unrolled: 1-line block ×3, first 2 shown]
	v_or_b32_e32 v33, 0xc0, v24
	v_add_nc_u32_e32 v32, 0xf0, v24
; %bb.11:
	s_or_saveexec_b32 s1, s0
	v_lshlrev_b64 v[30:31], 3, v[0:1]
	v_lshl_add_u32 v48, v24, 3, 0
	v_or_b32_e32 v28, 0x240, v24
	s_xor_b32 exec_lo, exec_lo, s1
	s_cbranch_execz .LBB0_13
; %bb.12:
	v_mov_b32_e32 v25, 0
	v_add_co_u32 v22, s0, s8, v30
	s_delay_alu instid0(VALU_DEP_1) | instskip(NEXT) | instid1(VALU_DEP_3)
	v_add_co_ci_u32_e64 v23, s0, s9, v31, s0
	v_lshlrev_b64 v[0:1], 3, v[24:25]
	v_mov_b32_e32 v29, v25
	v_add_nc_u32_e32 v25, 0x800, v48
	v_add_nc_u32_e32 v27, 0xc00, v48
	s_delay_alu instid0(VALU_DEP_3) | instskip(SKIP_1) | instid1(VALU_DEP_1)
	v_lshlrev_b64 v[18:19], 3, v[28:29]
	v_add_co_u32 v0, s0, v22, v0
	v_add_co_ci_u32_e64 v1, s0, v23, v1, s0
	v_add_nc_u32_e32 v29, 0x1000, v48
	s_delay_alu instid0(VALU_DEP_3) | instskip(NEXT) | instid1(VALU_DEP_1)
	v_add_co_u32 v20, s0, 0x1000, v0
	v_add_co_ci_u32_e64 v21, s0, 0, v1, s0
	v_add_co_u32 v18, s0, v22, v18
	s_delay_alu instid0(VALU_DEP_1)
	v_add_co_ci_u32_e64 v19, s0, v23, v19, s0
	s_clause 0xf
	global_load_b64 v[2:3], v[0:1], off
	global_load_b64 v[4:5], v[0:1], off offset:384
	global_load_b64 v[6:7], v[0:1], off offset:768
	;; [unrolled: 1-line block ×13, first 2 shown]
	global_load_b64 v[18:19], v[18:19], off
	global_load_b64 v[20:21], v[20:21], off offset:1664
	s_waitcnt vmcnt(14)
	ds_store_2addr_b64 v48, v[2:3], v[4:5] offset1:48
	s_waitcnt vmcnt(12)
	ds_store_2addr_b64 v48, v[6:7], v[8:9] offset0:96 offset1:144
	s_waitcnt vmcnt(10)
	ds_store_2addr_b64 v48, v[10:11], v[12:13] offset0:192 offset1:240
	;; [unrolled: 2-line block ×7, first 2 shown]
.LBB0_13:
	s_or_b32 exec_lo, exec_lo, s1
	v_add_nc_u32_e32 v25, 0x800, v48
	s_waitcnt lgkmcnt(0)
	s_barrier
	buffer_gl0_inv
	ds_load_2addr_b64 v[0:3], v48 offset1:48
	v_add_nc_u32_e32 v27, 0x1000, v48
	v_add_nc_u32_e32 v20, 0xc00, v48
	ds_load_2addr_b64 v[4:7], v25 offset0:128 offset1:176
	ds_load_2addr_b64 v[8:11], v48 offset0:192 offset1:240
	;; [unrolled: 1-line block ×7, first 2 shown]
	s_waitcnt lgkmcnt(0)
	s_barrier
	buffer_gl0_inv
	v_cmp_gt_u32_e64 s0, 16, v24
	v_dual_sub_f32 v5, v1, v5 :: v_dual_sub_f32 v4, v0, v4
	v_dual_sub_f32 v13, v9, v13 :: v_dual_sub_f32 v12, v8, v12
	v_sub_f32_e32 v21, v17, v21
	v_dual_sub_f32 v29, v36, v40 :: v_dual_sub_f32 v14, v10, v14
	v_sub_f32_e32 v40, v37, v41
	;; [unrolled: 2-line block ×3, first 2 shown]
	v_fma_f32 v0, v0, 2.0, -v4
	v_fma_f32 v8, v8, 2.0, -v12
	;; [unrolled: 1-line block ×4, first 2 shown]
	v_dual_sub_f32 v15, v11, v15 :: v_dual_sub_f32 v22, v18, v22
	s_delay_alu instid0(VALU_DEP_4)
	v_dual_sub_f32 v23, v19, v23 :: v_dual_sub_f32 v8, v0, v8
	v_dual_sub_f32 v41, v38, v42 :: v_dual_sub_f32 v42, v39, v43
	v_fma_f32 v1, v1, 2.0, -v5
	v_fma_f32 v9, v9, 2.0, -v13
	v_fma_f32 v16, v16, 2.0, -v20
	v_fma_f32 v36, v36, 2.0, -v29
	v_fma_f32 v2, v2, 2.0, -v6
	v_fma_f32 v3, v3, 2.0, -v7
	v_fma_f32 v10, v10, 2.0, -v14
	v_fma_f32 v11, v11, 2.0, -v15
	v_fma_f32 v18, v18, 2.0, -v22
	v_fma_f32 v19, v19, 2.0, -v23
	v_fma_f32 v38, v38, 2.0, -v41
	v_fma_f32 v39, v39, 2.0, -v42
	v_dual_add_f32 v13, v4, v13 :: v_dual_sub_f32 v12, v5, v12
	v_dual_sub_f32 v37, v17, v37 :: v_dual_add_f32 v40, v20, v40
	v_dual_sub_f32 v29, v21, v29 :: v_dual_sub_f32 v10, v2, v10
	v_dual_sub_f32 v9, v1, v9 :: v_dual_sub_f32 v36, v16, v36
	s_delay_alu instid0(VALU_DEP_4)
	v_fma_f32 v4, v4, 2.0, -v13
	v_fma_f32 v5, v5, 2.0, -v12
	;; [unrolled: 1-line block ×3, first 2 shown]
	v_dual_sub_f32 v11, v3, v11 :: v_dual_sub_f32 v38, v18, v38
	v_fma_f32 v21, v21, 2.0, -v29
	v_dual_sub_f32 v39, v19, v39 :: v_dual_add_f32 v42, v22, v42
	v_fma_f32 v0, v0, 2.0, -v8
	v_fma_f32 v1, v1, 2.0, -v9
	;; [unrolled: 1-line block ×5, first 2 shown]
	v_dual_add_f32 v15, v6, v15 :: v_dual_sub_f32 v14, v7, v14
	v_fma_f32 v3, v3, 2.0, -v11
	v_fma_f32 v18, v18, 2.0, -v38
	;; [unrolled: 1-line block ×3, first 2 shown]
	v_dual_sub_f32 v41, v23, v41 :: v_dual_sub_f32 v44, v0, v16
	v_dual_fmamk_f32 v43, v20, 0xbf3504f3, v4 :: v_dual_fmamk_f32 v46, v21, 0xbf3504f3, v5
	v_fma_f32 v6, v6, 2.0, -v15
	v_fma_f32 v22, v22, 2.0, -v42
	v_sub_f32_e32 v45, v1, v17
	s_delay_alu instid0(VALU_DEP_4)
	v_dual_fmac_f32 v43, 0x3f3504f3, v21 :: v_dual_fmamk_f32 v50, v29, 0x3f3504f3, v12
	v_fma_f32 v16, v23, 2.0, -v41
	v_fmac_f32_e32 v46, 0xbf3504f3, v20
	v_dual_fmamk_f32 v23, v40, 0x3f3504f3, v13 :: v_dual_sub_f32 v18, v2, v18
	v_dual_sub_f32 v49, v9, v36 :: v_dual_fmamk_f32 v52, v42, 0x3f3504f3, v15
	v_sub_f32_e32 v19, v3, v19
	v_fma_f32 v7, v7, 2.0, -v14
	v_fma_f32 v17, v1, 2.0, -v45
	v_dual_add_f32 v47, v8, v37 :: v_dual_fmac_f32 v50, 0xbf3504f3, v40
	v_fma_f32 v21, v5, 2.0, -v46
	v_dual_fmac_f32 v23, 0x3f3504f3, v29 :: v_dual_sub_f32 v54, v11, v38
	v_fma_f32 v1, v2, 2.0, -v18
	v_dual_add_f32 v53, v10, v39 :: v_dual_fmac_f32 v52, 0x3f3504f3, v41
	v_fma_f32 v2, v3, 2.0, -v19
	v_fmamk_f32 v37, v22, 0xbf3504f3, v6
	v_fma_f32 v36, v9, 2.0, -v49
	v_fmamk_f32 v55, v41, 0x3f3504f3, v14
	v_fma_f32 v10, v10, 2.0, -v53
	v_dual_sub_f32 v2, v17, v2 :: v_dual_fmamk_f32 v51, v16, 0xbf3504f3, v7
	v_dual_fmac_f32 v37, 0x3f3504f3, v16 :: v_dual_sub_f32 v18, v45, v18
	v_fma_f32 v16, v12, 2.0, -v50
	v_fma_f32 v12, v11, 2.0, -v54
	;; [unrolled: 1-line block ×3, first 2 shown]
	v_fmac_f32_e32 v55, 0xbf3504f3, v42
	v_fma_f32 v20, v4, 2.0, -v43
	v_fma_f32 v9, v6, 2.0, -v37
	v_fmamk_f32 v8, v12, 0xbf3504f3, v36
	v_fma_f32 v0, v0, 2.0, -v44
	v_fma_f32 v40, v13, 2.0, -v23
	;; [unrolled: 1-line block ×3, first 2 shown]
	v_fmamk_f32 v3, v9, 0xbf6c835e, v20
	v_fmac_f32_e32 v8, 0xbf3504f3, v10
	v_fmac_f32_e32 v51, 0xbf3504f3, v22
	v_fma_f32 v13, v14, 2.0, -v55
	v_sub_f32_e32 v1, v0, v1
	v_fma_f32 v6, v17, 2.0, -v2
	v_fma_f32 v14, v36, 2.0, -v8
	;; [unrolled: 1-line block ×3, first 2 shown]
	v_add_f32_e32 v17, v44, v19
	v_fmamk_f32 v36, v52, 0x3f6c835e, v23
	v_fmamk_f32 v19, v37, 0x3ec3ef15, v43
	;; [unrolled: 1-line block ×3, first 2 shown]
	v_fmac_f32_e32 v3, 0x3ec3ef15, v7
	v_fmamk_f32 v4, v7, 0xbf6c835e, v21
	v_fmamk_f32 v7, v10, 0xbf3504f3, v29
	;; [unrolled: 1-line block ×4, first 2 shown]
	v_fma_f32 v11, v20, 2.0, -v3
	v_fmamk_f32 v20, v51, 0x3ec3ef15, v46
	v_fmac_f32_e32 v4, 0xbec3ef15, v9
	v_fmamk_f32 v9, v15, 0xbec3ef15, v40
	v_dual_fmac_f32 v7, 0x3f3504f3, v12 :: v_dual_fmac_f32 v38, 0x3f3504f3, v54
	s_delay_alu instid0(VALU_DEP_4) | instskip(SKIP_1) | instid1(VALU_DEP_4)
	v_fmac_f32_e32 v20, 0xbf6c835e, v37
	v_fmamk_f32 v37, v55, 0x3f6c835e, v50
	v_fmac_f32_e32 v9, 0x3f6c835e, v13
	v_fmac_f32_e32 v10, 0xbf6c835e, v15
	;; [unrolled: 1-line block ×6, first 2 shown]
	v_fma_f32 v5, v0, 2.0, -v1
	v_fma_f32 v12, v21, 2.0, -v4
	v_mad_u32_u24 v0, 0x78, v24, v48
	v_fma_f32 v13, v29, 2.0, -v7
	v_fma_f32 v15, v40, 2.0, -v9
	;; [unrolled: 1-line block ×3, first 2 shown]
	v_lshl_add_u32 v52, v26, 3, 0
	v_fma_f32 v21, v44, 2.0, -v17
	v_fma_f32 v22, v45, 2.0, -v18
	;; [unrolled: 1-line block ×4, first 2 shown]
	v_lshl_add_u32 v51, v35, 3, 0
	v_fma_f32 v42, v47, 2.0, -v38
	v_fma_f32 v43, v49, 2.0, -v39
	;; [unrolled: 1-line block ×4, first 2 shown]
	v_lshl_add_u32 v50, v34, 3, 0
	v_lshl_add_u32 v49, v33, 3, 0
	ds_store_2addr_b64 v0, v[5:6], v[11:12] offset1:1
	ds_store_2addr_b64 v0, v[13:14], v[15:16] offset0:2 offset1:3
	ds_store_2addr_b64 v0, v[21:22], v[40:41] offset0:4 offset1:5
	;; [unrolled: 1-line block ×7, first 2 shown]
	s_waitcnt lgkmcnt(0)
	s_barrier
	buffer_gl0_inv
	ds_load_2addr_stride64_b64 v[4:7], v48 offset1:4
	ds_load_2addr_b64 v[8:11], v27 offset1:48
	ds_load_2addr_b64 v[16:19], v25 offset0:48 offset1:96
	ds_load_2addr_b64 v[12:15], v27 offset0:96 offset1:144
	;; [unrolled: 1-line block ×3, first 2 shown]
	ds_load_b64 v[44:45], v52
	ds_load_b64 v[42:43], v51
	;; [unrolled: 1-line block ×4, first 2 shown]
	ds_load_b64 v[46:47], v48 offset:5632
	v_lshl_add_u32 v29, v32, 3, 0
                                        ; implicit-def: $vgpr3
	s_and_saveexec_b32 s1, s0
	s_cbranch_execz .LBB0_15
; %bb.14:
	v_mad_i32_i24 v0, 0xffffff88, v24, v0
	s_delay_alu instid0(VALU_DEP_1)
	v_add_nc_u32_e32 v0, 0x180, v0
	ds_load_b64 v[36:37], v29
	ds_load_2addr_stride64_b64 v[0:3], v0 offset0:7 offset1:11
.LBB0_15:
	s_or_b32 exec_lo, exec_lo, s1
	v_and_b32_e32 v25, 15, v24
	v_lshrrev_b32_e32 v57, 4, v26
	v_lshrrev_b32_e32 v58, 4, v35
	;; [unrolled: 1-line block ×4, first 2 shown]
	v_lshlrev_b32_e32 v27, 4, v25
	v_mul_lo_u32 v57, v57, 48
	v_mul_lo_u32 v58, v58, 48
	;; [unrolled: 1-line block ×4, first 2 shown]
	global_load_b128 v[53:56], v27, s[4:5]
	v_lshrrev_b32_e32 v27, 4, v24
	s_waitcnt vmcnt(0) lgkmcnt(0)
	s_barrier
	v_or_b32_e32 v57, v57, v25
	v_or_b32_e32 v58, v58, v25
	v_mul_u32_u24_e32 v27, 48, v27
	v_or_b32_e32 v59, v59, v25
	buffer_gl0_inv
	v_lshl_add_u32 v57, v57, 3, 0
	v_lshl_add_u32 v58, v58, 3, 0
	v_or_b32_e32 v27, v27, v25
	v_or_b32_e32 v25, v60, v25
	v_lshl_add_u32 v59, v59, 3, 0
	s_delay_alu instid0(VALU_DEP_3) | instskip(NEXT) | instid1(VALU_DEP_3)
	v_lshl_add_u32 v27, v27, 3, 0
	v_lshl_add_u32 v25, v25, 3, 0
	v_mul_f32_e32 v66, v56, v11
	v_mul_f32_e32 v60, v54, v7
	v_dual_mul_f32 v61, v54, v6 :: v_dual_mul_f32 v62, v56, v9
	v_dual_mul_f32 v65, v54, v16 :: v_dual_mul_f32 v70, v56, v13
	;; [unrolled: 1-line block ×6, first 2 shown]
	v_fmac_f32_e32 v62, v55, v8
	v_fma_f32 v8, v53, v17, -v65
	v_fmac_f32_e32 v60, v53, v6
	v_fma_f32 v6, v53, v7, -v61
	v_mul_f32_e32 v73, v54, v20
	v_dual_mul_f32 v75, v56, v14 :: v_dual_mul_f32 v76, v54, v23
	v_dual_mul_f32 v54, v54, v22 :: v_dual_mul_f32 v77, v56, v47
	v_mul_f32_e32 v56, v56, v46
	v_fma_f32 v7, v55, v9, -v63
	v_fmac_f32_e32 v66, v55, v10
	v_fma_f32 v9, v55, v11, -v67
	v_fma_f32 v10, v53, v19, -v69
	;; [unrolled: 1-line block ×3, first 2 shown]
	v_fmac_f32_e32 v68, v53, v18
	v_dual_fmac_f32 v64, v53, v16 :: v_dual_fmac_f32 v77, v55, v46
	v_dual_add_f32 v19, v5, v6 :: v_dual_fmac_f32 v70, v55, v12
	v_fmac_f32_e32 v72, v53, v20
	v_fma_f32 v12, v53, v21, -v73
	v_fma_f32 v13, v55, v15, -v75
	v_fmac_f32_e32 v76, v53, v22
	v_fma_f32 v15, v55, v47, -v56
	v_dual_add_f32 v63, v10, v11 :: v_dual_fmac_f32 v74, v55, v14
	v_add_f32_e32 v55, v42, v68
	v_fma_f32 v14, v53, v23, -v54
	v_add_f32_e32 v53, v8, v9
	v_add_f32_e32 v17, v60, v62
	v_dual_sub_f32 v21, v60, v62 :: v_dual_add_f32 v20, v6, v7
	v_add_f32_e32 v67, v72, v74
	v_dual_add_f32 v47, v45, v8 :: v_dual_sub_f32 v18, v6, v7
	v_add_f32_e32 v23, v64, v66
	v_dual_add_f32 v56, v68, v70 :: v_dual_add_f32 v7, v19, v7
	v_dual_add_f32 v16, v4, v60 :: v_dual_add_f32 v61, v43, v10
	v_dual_sub_f32 v46, v8, v9 :: v_dual_add_f32 v69, v41, v12
	v_dual_sub_f32 v60, v10, v11 :: v_dual_add_f32 v71, v12, v13
	v_add_f32_e32 v65, v40, v72
	v_dual_add_f32 v75, v76, v77 :: v_dual_sub_f32 v78, v14, v15
	v_add_f32_e32 v80, v14, v15
	v_fma_f32 v4, -0.5, v17, v4
	v_fma_f32 v5, -0.5, v20, v5
	v_dual_add_f32 v22, v44, v64 :: v_dual_add_f32 v79, v39, v14
	v_dual_sub_f32 v54, v64, v66 :: v_dual_add_f32 v73, v38, v76
	v_dual_sub_f32 v72, v72, v74 :: v_dual_fmac_f32 v45, -0.5, v53
	v_fma_f32 v44, -0.5, v23, v44
	v_dual_sub_f32 v64, v68, v70 :: v_dual_add_f32 v9, v47, v9
	v_dual_sub_f32 v76, v76, v77 :: v_dual_fmac_f32 v43, -0.5, v63
	v_fma_f32 v42, -0.5, v56, v42
	v_dual_sub_f32 v68, v12, v13 :: v_dual_add_f32 v11, v61, v11
	v_dual_add_f32 v6, v16, v62 :: v_dual_fmac_f32 v41, -0.5, v71
	v_fma_f32 v40, -0.5, v67, v40
	v_dual_add_f32 v13, v69, v13 :: v_dual_add_f32 v10, v55, v70
	v_fmac_f32_e32 v39, -0.5, v80
	v_fma_f32 v38, -0.5, v75, v38
	v_fmamk_f32 v16, v18, 0xbf5db3d7, v4
	v_dual_fmac_f32 v4, 0x3f5db3d7, v18 :: v_dual_fmamk_f32 v17, v21, 0x3f5db3d7, v5
	v_dual_add_f32 v12, v65, v74 :: v_dual_fmac_f32 v5, 0xbf5db3d7, v21
	v_dual_add_f32 v8, v22, v66 :: v_dual_add_f32 v15, v79, v15
	v_dual_add_f32 v14, v73, v77 :: v_dual_fmamk_f32 v19, v54, 0x3f5db3d7, v45
	v_fmamk_f32 v18, v46, 0xbf5db3d7, v44
	v_dual_fmac_f32 v44, 0x3f5db3d7, v46 :: v_dual_fmamk_f32 v21, v64, 0x3f5db3d7, v43
	v_dual_fmac_f32 v45, 0xbf5db3d7, v54 :: v_dual_fmamk_f32 v20, v60, 0xbf5db3d7, v42
	v_dual_fmac_f32 v42, 0x3f5db3d7, v60 :: v_dual_fmamk_f32 v23, v72, 0x3f5db3d7, v41
	v_dual_fmac_f32 v43, 0xbf5db3d7, v64 :: v_dual_fmamk_f32 v22, v68, 0xbf5db3d7, v40
	v_dual_fmac_f32 v40, 0x3f5db3d7, v68 :: v_dual_fmamk_f32 v47, v76, 0x3f5db3d7, v39
	v_dual_fmac_f32 v41, 0xbf5db3d7, v72 :: v_dual_fmamk_f32 v46, v78, 0xbf5db3d7, v38
	v_fmac_f32_e32 v38, 0x3f5db3d7, v78
	v_fmac_f32_e32 v39, 0xbf5db3d7, v76
	ds_store_2addr_b64 v27, v[6:7], v[16:17] offset1:16
	ds_store_b64 v27, v[4:5] offset:256
	ds_store_2addr_b64 v57, v[8:9], v[18:19] offset1:16
	ds_store_b64 v57, v[44:45] offset:256
	;; [unrolled: 2-line block ×5, first 2 shown]
	s_and_saveexec_b32 s1, s0
	s_cbranch_execz .LBB0_17
; %bb.16:
	v_lshlrev_b32_e32 v4, 4, v24
	s_delay_alu instid0(VALU_DEP_1)
	v_and_b32_e32 v4, 0xf0, v4
	global_load_b128 v[4:7], v4, s[4:5]
	s_waitcnt vmcnt(0)
	v_dual_mul_f32 v8, v0, v5 :: v_dual_mul_f32 v9, v2, v7
	v_mul_f32_e32 v7, v3, v7
	v_mul_f32_e32 v5, v1, v5
	s_delay_alu instid0(VALU_DEP_3) | instskip(NEXT) | instid1(VALU_DEP_4)
	v_fma_f32 v8, v1, v4, -v8
	v_fma_f32 v3, v3, v6, -v9
	s_delay_alu instid0(VALU_DEP_4) | instskip(NEXT) | instid1(VALU_DEP_4)
	v_dual_fmac_f32 v7, v2, v6 :: v_dual_add_nc_u32 v6, 0x1000, v48
	v_fmac_f32_e32 v5, v0, v4
	s_delay_alu instid0(VALU_DEP_3) | instskip(NEXT) | instid1(VALU_DEP_2)
	v_dual_add_f32 v9, v37, v8 :: v_dual_add_f32 v0, v8, v3
	v_sub_f32_e32 v4, v5, v7
	s_delay_alu instid0(VALU_DEP_2) | instskip(SKIP_2) | instid1(VALU_DEP_2)
	v_fma_f32 v1, -0.5, v0, v37
	v_dual_add_f32 v2, v5, v7 :: v_dual_add_f32 v5, v36, v5
	v_sub_f32_e32 v8, v8, v3
	v_fma_f32 v0, -0.5, v2, v36
	v_add_f32_e32 v3, v9, v3
	s_delay_alu instid0(VALU_DEP_4) | instskip(NEXT) | instid1(VALU_DEP_3)
	v_dual_add_f32 v2, v5, v7 :: v_dual_fmamk_f32 v5, v4, 0xbf5db3d7, v1
	v_dual_fmac_f32 v1, 0x3f5db3d7, v4 :: v_dual_fmamk_f32 v4, v8, 0x3f5db3d7, v0
	v_fmac_f32_e32 v0, 0xbf5db3d7, v8
	ds_store_2addr_b64 v6, v[2:3], v[0:1] offset0:208 offset1:224
	ds_store_b64 v48, v[4:5] offset:6016
.LBB0_17:
	s_or_b32 exec_lo, exec_lo, s1
	v_mul_u32_u24_e32 v0, 15, v24
	s_waitcnt lgkmcnt(0)
	s_barrier
	buffer_gl0_inv
	s_add_u32 s1, s4, 0x1780
	v_lshlrev_b32_e32 v25, 3, v0
	s_addc_u32 s2, s5, 0
	s_mov_b32 s3, exec_lo
	s_clause 0x7
	global_load_b128 v[0:3], v25, s[4:5] offset:256
	global_load_b128 v[4:7], v25, s[4:5] offset:272
	;; [unrolled: 1-line block ×7, first 2 shown]
	global_load_b64 v[65:66], v25, s[4:5] offset:368
	v_add_nc_u32_e32 v25, 0x800, v48
	ds_load_b64 v[67:68], v52
	ds_load_b64 v[69:70], v51
	;; [unrolled: 1-line block ×5, first 2 shown]
	v_add_nc_u32_e32 v27, 0xc00, v48
	ds_load_2addr_b64 v[40:43], v25 offset0:32 offset1:80
	ds_load_b64 v[77:78], v48
	v_add_nc_u32_e32 v79, 0x1000, v48
	s_waitcnt vmcnt(7) lgkmcnt(5)
	v_dual_mul_f32 v81, v3, v70 :: v_dual_add_nc_u32 v80, 0x400, v48
	s_waitcnt vmcnt(6) lgkmcnt(4)
	v_mul_f32_e32 v82, v5, v72
	s_waitcnt vmcnt(5) lgkmcnt(2)
	v_mul_f32_e32 v84, v76, v9
	;; [unrolled: 2-line block ×3, first 2 shown]
	ds_load_2addr_b64 v[44:47], v25 offset0:128 offset1:176
	ds_load_2addr_b64 v[53:56], v27 offset0:96 offset1:144
	;; [unrolled: 1-line block ×4, first 2 shown]
	v_mul_f32_e32 v3, v3, v69
	v_dual_mul_f32 v5, v5, v71 :: v_dual_fmac_f32 v84, v75, v8
	v_fmac_f32_e32 v81, v2, v69
	v_fmac_f32_e32 v86, v42, v12
	s_delay_alu instid0(VALU_DEP_4)
	v_fma_f32 v2, v2, v70, -v3
	v_dual_mul_f32 v27, v1, v68 :: v_dual_fmac_f32 v82, v4, v71
	v_mul_f32_e32 v1, v1, v67
	v_fma_f32 v4, v4, v72, -v5
	s_waitcnt vmcnt(0) lgkmcnt(0)
	s_barrier
	buffer_gl0_inv
	v_mul_f32_e32 v88, v47, v17
	v_mul_f32_e32 v3, v55, v21
	;; [unrolled: 1-line block ×5, first 2 shown]
	v_fmac_f32_e32 v88, v46, v16
	v_fma_f32 v3, v56, v20, -v3
	v_fmac_f32_e32 v83, v6, v73
	v_fma_f32 v5, v62, v38, -v5
	v_fmac_f32_e32 v89, v53, v18
	s_delay_alu instid0(VALU_DEP_4)
	v_sub_f32_e32 v3, v4, v3
	v_fmac_f32_e32 v27, v0, v67
	v_fma_f32 v0, v0, v68, -v1
	v_dual_mul_f32 v68, v62, v39 :: v_dual_mul_f32 v39, v64, v66
	v_mul_f32_e32 v1, v53, v19
	v_mul_f32_e32 v7, v7, v73
	s_delay_alu instid0(VALU_DEP_3) | instskip(NEXT) | instid1(VALU_DEP_4)
	v_dual_mul_f32 v13, v42, v13 :: v_dual_fmac_f32 v68, v61, v38
	v_fmac_f32_e32 v39, v63, v65
	v_mul_f32_e32 v19, v56, v21
	v_mul_f32_e32 v21, v58, v23
	v_fma_f32 v6, v6, v74, -v7
	v_mul_f32_e32 v7, v63, v66
	v_fma_f32 v1, v54, v18, -v1
	v_fmac_f32_e32 v19, v55, v20
	v_fmac_f32_e32 v21, v57, v22
	v_mul_f32_e32 v85, v41, v11
	v_dual_mul_f32 v11, v40, v11 :: v_dual_sub_f32 v20, v27, v88
	v_fma_f32 v7, v64, v65, -v7
	v_fma_f32 v4, v4, 2.0, -v3
	s_delay_alu instid0(VALU_DEP_4) | instskip(SKIP_2) | instid1(VALU_DEP_3)
	v_fmac_f32_e32 v85, v40, v10
	v_mul_f32_e32 v9, v75, v9
	v_sub_f32_e32 v1, v2, v1
	v_dual_sub_f32 v19, v82, v19 :: v_dual_sub_f32 v18, v85, v68
	s_delay_alu instid0(VALU_DEP_3)
	v_fma_f32 v8, v76, v8, -v9
	v_fma_f32 v9, v41, v10, -v11
	;; [unrolled: 1-line block ×3, first 2 shown]
	v_mul_f32_e32 v17, v46, v17
	v_mul_f32_e32 v87, v45, v15
	v_fma_f32 v2, v2, 2.0, -v1
	v_sub_f32_e32 v5, v9, v5
	v_sub_f32_e32 v7, v10, v7
	v_fma_f32 v41, v82, 2.0, -v19
	v_fmac_f32_e32 v87, v44, v14
	s_delay_alu instid0(VALU_DEP_4) | instskip(NEXT) | instid1(VALU_DEP_4)
	v_fma_f32 v9, v9, 2.0, -v5
	v_fma_f32 v10, v10, 2.0, -v7
	v_mul_f32_e32 v23, v57, v23
	s_delay_alu instid0(VALU_DEP_2) | instskip(NEXT) | instid1(VALU_DEP_2)
	v_dual_sub_f32 v9, v2, v9 :: v_dual_sub_f32 v10, v4, v10
	v_fma_f32 v13, v58, v22, -v23
	v_sub_f32_e32 v22, v86, v39
	v_fma_f32 v39, v85, 2.0, -v18
	v_dual_sub_f32 v18, v1, v18 :: v_dual_mul_f32 v67, v60, v37
	v_fma_f32 v12, v47, v16, -v17
	v_dual_sub_f32 v16, v83, v21 :: v_dual_mul_f32 v15, v44, v15
	v_fma_f32 v42, v86, 2.0, -v22
	v_sub_f32_e32 v22, v3, v22
	s_delay_alu instid0(VALU_DEP_4) | instskip(NEXT) | instid1(VALU_DEP_4)
	v_dual_mul_f32 v37, v59, v37 :: v_dual_sub_f32 v12, v0, v12
	v_fma_f32 v11, v45, v14, -v15
	s_delay_alu instid0(VALU_DEP_4) | instskip(SKIP_1) | instid1(VALU_DEP_4)
	v_sub_f32_e32 v42, v41, v42
	v_fma_f32 v2, v2, 2.0, -v9
	v_fma_f32 v14, v60, v36, -v37
	v_fma_f32 v37, v83, 2.0, -v16
	v_sub_f32_e32 v11, v78, v11
	v_fma_f32 v0, v0, 2.0, -v12
	v_fma_f32 v27, v27, 2.0, -v20
	v_sub_f32_e32 v14, v8, v14
	v_fma_f32 v4, v4, 2.0, -v10
	v_sub_f32_e32 v16, v11, v16
	v_fma_f32 v1, v1, 2.0, -v18
	v_fma_f32 v3, v3, 2.0, -v22
	;; [unrolled: 1-line block ×3, first 2 shown]
	v_add_f32_e32 v14, v20, v14
	v_dual_fmamk_f32 v44, v18, 0x3f3504f3, v16 :: v_dual_fmac_f32 v67, v59, v36
	v_fma_f32 v36, v78, 2.0, -v11
	s_delay_alu instid0(VALU_DEP_4) | instskip(SKIP_2) | instid1(VALU_DEP_3)
	v_sub_f32_e32 v8, v0, v8
	v_fma_f32 v11, v11, 2.0, -v16
	v_fma_f32 v20, v20, 2.0, -v14
	;; [unrolled: 1-line block ×4, first 2 shown]
	v_sub_f32_e32 v42, v8, v42
	v_dual_sub_f32 v21, v84, v67 :: v_dual_fmamk_f32 v54, v1, 0xbf3504f3, v11
	s_delay_alu instid0(VALU_DEP_1) | instskip(NEXT) | instid1(VALU_DEP_1)
	v_fma_f32 v40, v84, 2.0, -v21
	v_sub_f32_e32 v40, v27, v40
	s_delay_alu instid0(VALU_DEP_1) | instskip(SKIP_2) | instid1(VALU_DEP_2)
	v_add_f32_e32 v56, v40, v10
	v_dual_sub_f32 v10, v47, v4 :: v_dual_sub_f32 v17, v81, v89
	v_fma_f32 v27, v27, 2.0, -v40
	v_fma_f32 v38, v81, 2.0, -v17
	v_add_f32_e32 v5, v17, v5
	s_delay_alu instid0(VALU_DEP_2) | instskip(NEXT) | instid1(VALU_DEP_2)
	v_sub_f32_e32 v39, v38, v39
	v_fma_f32 v17, v17, 2.0, -v5
	v_fmac_f32_e32 v44, 0xbf3504f3, v5
	s_delay_alu instid0(VALU_DEP_3) | instskip(NEXT) | instid1(VALU_DEP_3)
	v_fma_f32 v38, v38, 2.0, -v39
	v_dual_fmac_f32 v54, 0xbf3504f3, v17 :: v_dual_sub_f32 v15, v77, v87
	s_delay_alu instid0(VALU_DEP_3) | instskip(SKIP_1) | instid1(VALU_DEP_3)
	v_fma_f32 v59, v16, 2.0, -v44
	v_fma_f32 v16, v40, 2.0, -v56
	;; [unrolled: 1-line block ×3, first 2 shown]
	s_delay_alu instid0(VALU_DEP_4) | instskip(NEXT) | instid1(VALU_DEP_1)
	v_fma_f32 v23, v77, 2.0, -v15
	v_sub_f32_e32 v37, v23, v37
	s_delay_alu instid0(VALU_DEP_1) | instskip(SKIP_2) | instid1(VALU_DEP_3)
	v_add_f32_e32 v41, v37, v9
	v_fma_f32 v23, v23, 2.0, -v37
	v_sub_f32_e32 v9, v27, v0
	v_fma_f32 v37, v37, 2.0, -v41
	v_fmamk_f32 v0, v56, 0x3f3504f3, v41
	s_delay_alu instid0(VALU_DEP_2) | instskip(NEXT) | instid1(VALU_DEP_2)
	v_dual_fmamk_f32 v4, v16, 0xbf3504f3, v37 :: v_dual_add_f32 v7, v19, v7
	v_dual_fmac_f32 v0, 0x3f3504f3, v42 :: v_dual_sub_f32 v21, v12, v21
	s_delay_alu instid0(VALU_DEP_1) | instskip(SKIP_1) | instid1(VALU_DEP_2)
	v_dual_fmamk_f32 v45, v7, 0x3f3504f3, v14 :: v_dual_fmamk_f32 v46, v22, 0x3f3504f3, v21
	v_fma_f32 v12, v12, 2.0, -v21
	v_fmac_f32_e32 v45, 0x3f3504f3, v22
	v_dual_sub_f32 v13, v6, v13 :: v_dual_sub_f32 v22, v23, v38
	s_delay_alu instid0(VALU_DEP_3) | instskip(NEXT) | instid1(VALU_DEP_2)
	v_fmamk_f32 v55, v3, 0xbf3504f3, v12
	v_fma_f32 v6, v6, 2.0, -v13
	v_add_f32_e32 v13, v15, v13
	s_delay_alu instid0(VALU_DEP_4) | instskip(NEXT) | instid1(VALU_DEP_3)
	v_fma_f32 v23, v23, 2.0, -v22
	v_sub_f32_e32 v6, v36, v6
	s_delay_alu instid0(VALU_DEP_3) | instskip(SKIP_1) | instid1(VALU_DEP_3)
	v_fma_f32 v15, v15, 2.0, -v13
	v_fmamk_f32 v43, v5, 0x3f3504f3, v13
	v_fma_f32 v36, v36, 2.0, -v6
	s_delay_alu instid0(VALU_DEP_3) | instskip(NEXT) | instid1(VALU_DEP_3)
	v_fmamk_f32 v53, v17, 0xbf3504f3, v15
	v_fmac_f32_e32 v43, 0x3f3504f3, v18
	v_fma_f32 v17, v8, 2.0, -v42
	s_delay_alu instid0(VALU_DEP_4) | instskip(NEXT) | instid1(VALU_DEP_4)
	v_dual_sub_f32 v39, v6, v39 :: v_dual_sub_f32 v38, v36, v2
	v_fmac_f32_e32 v53, 0x3f3504f3, v1
	s_delay_alu instid0(VALU_DEP_4) | instskip(NEXT) | instid1(VALU_DEP_4)
	v_fmamk_f32 v2, v45, 0x3f6c835e, v43
	v_fmac_f32_e32 v4, 0x3f3504f3, v17
	v_fmac_f32_e32 v46, 0xbf3504f3, v7
	v_add_f32_e32 v8, v22, v10
	v_fma_f32 v57, v6, 2.0, -v39
	v_fma_f32 v36, v36, 2.0, -v38
	;; [unrolled: 1-line block ×3, first 2 shown]
	v_fmac_f32_e32 v2, 0x3ec3ef15, v46
	v_fma_f32 v19, v19, 2.0, -v7
	v_fma_f32 v21, v21, 2.0, -v46
	v_fmamk_f32 v1, v42, 0x3f3504f3, v39
	s_delay_alu instid0(VALU_DEP_3)
	v_dual_fmamk_f32 v5, v17, 0xbf3504f3, v57 :: v_dual_fmamk_f32 v18, v19, 0xbf3504f3, v20
	v_fmac_f32_e32 v55, 0xbf3504f3, v19
	v_fma_f32 v19, v14, 2.0, -v45
	v_fma_f32 v14, v47, 2.0, -v10
	v_fmamk_f32 v7, v21, 0xbec3ef15, v59
	v_fmac_f32_e32 v18, 0x3f3504f3, v3
	v_fma_f32 v47, v12, 2.0, -v55
	v_fmamk_f32 v11, v55, 0x3ec3ef15, v54
	v_fmamk_f32 v3, v46, 0x3f6c835e, v44
	v_fmac_f32_e32 v1, 0xbf3504f3, v56
	v_fmamk_f32 v10, v18, 0x3ec3ef15, v53
	v_fmamk_f32 v15, v47, 0xbf6c835e, v60
	v_fmac_f32_e32 v5, 0xbf3504f3, v16
	v_fmac_f32_e32 v7, 0xbf6c835e, v19
	;; [unrolled: 1-line block ×4, first 2 shown]
	v_fma_f32 v58, v13, 2.0, -v43
	v_fma_f32 v13, v27, 2.0, -v9
	;; [unrolled: 1-line block ×3, first 2 shown]
	v_sub_f32_e32 v9, v38, v9
	s_delay_alu instid0(VALU_DEP_4) | instskip(NEXT) | instid1(VALU_DEP_4)
	v_dual_fmac_f32 v3, 0xbec3ef15, v45 :: v_dual_fmamk_f32 v6, v19, 0xbec3ef15, v58
	v_dual_sub_f32 v12, v23, v13 :: v_dual_sub_f32 v13, v36, v14
	s_delay_alu instid0(VALU_DEP_4) | instskip(SKIP_1) | instid1(VALU_DEP_4)
	v_fmamk_f32 v14, v27, 0xbf6c835e, v40
	v_fmac_f32_e32 v15, 0xbec3ef15, v27
	v_fmac_f32_e32 v6, 0x3f6c835e, v21
	v_fma_f32 v16, v22, 2.0, -v8
	v_fma_f32 v17, v38, 2.0, -v9
	v_fmac_f32_e32 v14, 0x3ec3ef15, v47
	v_fma_f32 v19, v39, 2.0, -v1
	v_fma_f32 v22, v23, 2.0, -v12
	;; [unrolled: 1-line block ×14, first 2 shown]
	ds_store_2addr_b64 v48, v[36:37], v[38:39] offset0:96 offset1:144
	ds_store_2addr_b64 v48, v[22:23], v[40:41] offset1:48
	ds_store_b64 v49, v[16:17]
	ds_store_2addr_b64 v80, v[42:43], v[18:19] offset0:112 offset1:160
	ds_store_2addr_b64 v25, v[20:21], v[12:13] offset0:80 offset1:128
	;; [unrolled: 1-line block ×5, first 2 shown]
	ds_store_b64 v48, v[2:3] offset:5760
	s_waitcnt lgkmcnt(0)
	s_barrier
	buffer_gl0_inv
	ds_load_b64 v[4:5], v48
	v_lshlrev_b32_e32 v0, 3, v24
                                        ; implicit-def: $vgpr7
                                        ; implicit-def: $vgpr8
                                        ; implicit-def: $vgpr2_vgpr3
	s_delay_alu instid0(VALU_DEP_1)
	v_sub_nc_u32_e32 v6, 0, v0
                                        ; implicit-def: $vgpr0
	v_cmpx_ne_u32_e32 0, v24
	s_xor_b32 s3, exec_lo, s3
	s_cbranch_execz .LBB0_19
; %bb.18:
	ds_load_b64 v[2:3], v6 offset:6144
	s_waitcnt lgkmcnt(0)
	v_dual_mov_b32 v25, 0 :: v_dual_add_f32 v8, v3, v5
	s_delay_alu instid0(VALU_DEP_1) | instskip(SKIP_2) | instid1(VALU_DEP_2)
	v_lshlrev_b64 v[0:1], 3, v[24:25]
	v_dual_sub_f32 v7, v4, v2 :: v_dual_add_f32 v2, v2, v4
	v_sub_f32_e32 v3, v5, v3
	v_mul_f32_e32 v5, 0.5, v7
	s_delay_alu instid0(VALU_DEP_4) | instskip(NEXT) | instid1(VALU_DEP_1)
	v_add_co_u32 v0, s0, s1, v0
	v_add_co_ci_u32_e64 v1, s0, s2, v1, s0
	s_delay_alu instid0(VALU_DEP_4) | instskip(SKIP_3) | instid1(VALU_DEP_1)
	v_mul_f32_e32 v3, 0.5, v3
	global_load_b64 v[0:1], v[0:1], off
	s_waitcnt vmcnt(0)
	v_dual_mul_f32 v9, 0.5, v8 :: v_dual_mul_f32 v4, v1, v5
	v_fma_f32 v8, v9, v1, v3
	v_fma_f32 v1, v9, v1, -v3
	s_delay_alu instid0(VALU_DEP_3) | instskip(SKIP_1) | instid1(VALU_DEP_4)
	v_fma_f32 v7, 0.5, v2, v4
	v_fma_f32 v2, v2, 0.5, -v4
	v_fma_f32 v8, -v0, v5, v8
	s_delay_alu instid0(VALU_DEP_4) | instskip(NEXT) | instid1(VALU_DEP_4)
	v_fma_f32 v1, -v0, v5, v1
                                        ; implicit-def: $vgpr4_vgpr5
	v_fmac_f32_e32 v7, v0, v9
	s_delay_alu instid0(VALU_DEP_4)
	v_fma_f32 v0, -v0, v9, v2
	v_dual_mov_b32 v2, v24 :: v_dual_mov_b32 v3, v25
.LBB0_19:
	s_and_not1_saveexec_b32 s0, s3
	s_cbranch_execz .LBB0_21
; %bb.20:
	s_waitcnt lgkmcnt(0)
	v_dual_mov_b32 v8, 0 :: v_dual_add_f32 v7, v4, v5
	v_mov_b32_e32 v2, 0
	v_dual_sub_f32 v0, v4, v5 :: v_dual_mov_b32 v3, 0
	ds_load_b32 v1, v8 offset:3076
	s_waitcnt lgkmcnt(0)
	v_xor_b32_e32 v4, 0x80000000, v1
	v_mov_b32_e32 v1, 0
	ds_store_b32 v8, v4 offset:3076
.LBB0_21:
	s_or_b32 exec_lo, exec_lo, s0
	v_mov_b32_e32 v27, 0
	v_lshlrev_b64 v[2:3], 3, v[2:3]
	s_waitcnt lgkmcnt(0)
	s_delay_alu instid0(VALU_DEP_2) | instskip(SKIP_1) | instid1(VALU_DEP_1)
	v_lshlrev_b64 v[4:5], 3, v[26:27]
	v_mov_b32_e32 v36, v27
	v_lshlrev_b64 v[9:10], 3, v[35:36]
	s_delay_alu instid0(VALU_DEP_3) | instskip(NEXT) | instid1(VALU_DEP_1)
	v_add_co_u32 v4, s0, s1, v4
	v_add_co_ci_u32_e64 v5, s0, s2, v5, s0
	v_mov_b32_e32 v35, v27
	s_delay_alu instid0(VALU_DEP_4)
	v_add_co_u32 v9, s0, s1, v9
	global_load_b64 v[4:5], v[4:5], off
	v_add_co_ci_u32_e64 v10, s0, s2, v10, s0
	v_lshlrev_b64 v[11:12], 3, v[34:35]
	v_mov_b32_e32 v34, v27
	global_load_b64 v[9:10], v[9:10], off
	v_add_co_u32 v11, s0, s1, v11
	s_delay_alu instid0(VALU_DEP_1) | instskip(SKIP_4) | instid1(VALU_DEP_1)
	v_add_co_ci_u32_e64 v12, s0, s2, v12, s0
	v_lshlrev_b64 v[13:14], 3, v[33:34]
	v_mov_b32_e32 v33, v27
	global_load_b64 v[11:12], v[11:12], off
	v_add_co_u32 v13, s0, s1, v13
	v_add_co_ci_u32_e64 v14, s0, s2, v14, s0
	v_lshlrev_b64 v[15:16], 3, v[32:33]
	global_load_b64 v[13:14], v[13:14], off
	v_add_co_u32 v15, s0, s1, v15
	s_delay_alu instid0(VALU_DEP_1) | instskip(SKIP_1) | instid1(VALU_DEP_1)
	v_add_co_ci_u32_e64 v16, s0, s2, v16, s0
	v_add_co_u32 v17, s0, s1, v2
	v_add_co_ci_u32_e64 v18, s0, s2, v3, s0
	s_clause 0x1
	global_load_b64 v[15:16], v[15:16], off
	global_load_b64 v[19:20], v[17:18], off offset:2304
	ds_store_2addr_b32 v48, v7, v8 offset1:1
	ds_store_b64 v6, v[0:1] offset:6144
	global_load_b64 v[7:8], v[17:18], off offset:2688
	ds_load_b64 v[0:1], v52
	ds_load_b64 v[17:18], v6 offset:5760
	s_waitcnt lgkmcnt(0)
	v_dual_sub_f32 v21, v0, v17 :: v_dual_add_f32 v22, v1, v18
	v_dual_sub_f32 v1, v1, v18 :: v_dual_add_f32 v0, v0, v17
	s_delay_alu instid0(VALU_DEP_2) | instskip(NEXT) | instid1(VALU_DEP_2)
	v_dual_mul_f32 v18, 0.5, v21 :: v_dual_mul_f32 v21, 0.5, v22
	v_mul_f32_e32 v1, 0.5, v1
	s_waitcnt vmcnt(6)
	s_delay_alu instid0(VALU_DEP_2) | instskip(NEXT) | instid1(VALU_DEP_2)
	v_mul_f32_e32 v17, v5, v18
	v_fma_f32 v22, v21, v5, v1
	v_fma_f32 v1, v21, v5, -v1
	s_delay_alu instid0(VALU_DEP_3) | instskip(SKIP_1) | instid1(VALU_DEP_4)
	v_fma_f32 v5, 0.5, v0, v17
	v_fma_f32 v0, v0, 0.5, -v17
	v_fma_f32 v17, -v4, v18, v22
	s_delay_alu instid0(VALU_DEP_4) | instskip(NEXT) | instid1(VALU_DEP_4)
	v_fma_f32 v1, -v4, v18, v1
	v_fmac_f32_e32 v5, v4, v21
	s_delay_alu instid0(VALU_DEP_4)
	v_fma_f32 v0, -v4, v21, v0
	ds_store_2addr_b32 v52, v5, v17 offset1:1
	ds_store_b64 v6, v[0:1] offset:5760
	ds_load_b64 v[0:1], v51
	ds_load_b64 v[4:5], v6 offset:5376
	s_waitcnt lgkmcnt(0)
	v_dual_sub_f32 v17, v0, v4 :: v_dual_add_f32 v18, v1, v5
	v_dual_sub_f32 v1, v1, v5 :: v_dual_add_f32 v0, v0, v4
	s_delay_alu instid0(VALU_DEP_2) | instskip(NEXT) | instid1(VALU_DEP_3)
	v_mul_f32_e32 v5, 0.5, v17
	v_mul_f32_e32 v17, 0.5, v18
	s_delay_alu instid0(VALU_DEP_3) | instskip(SKIP_1) | instid1(VALU_DEP_3)
	v_mul_f32_e32 v1, 0.5, v1
	s_waitcnt vmcnt(5)
	v_mul_f32_e32 v4, v10, v5
	s_delay_alu instid0(VALU_DEP_2) | instskip(SKIP_1) | instid1(VALU_DEP_3)
	v_fma_f32 v18, v17, v10, v1
	v_fma_f32 v1, v17, v10, -v1
	v_fma_f32 v10, 0.5, v0, v4
	v_fma_f32 v0, v0, 0.5, -v4
	s_delay_alu instid0(VALU_DEP_4) | instskip(NEXT) | instid1(VALU_DEP_4)
	v_fma_f32 v4, -v9, v5, v18
	v_fma_f32 v1, -v9, v5, v1
	s_delay_alu instid0(VALU_DEP_4) | instskip(NEXT) | instid1(VALU_DEP_4)
	v_fmac_f32_e32 v10, v9, v17
	v_fma_f32 v0, -v9, v17, v0
	ds_store_2addr_b32 v51, v10, v4 offset1:1
	ds_store_b64 v6, v[0:1] offset:5376
	ds_load_b64 v[0:1], v50
	ds_load_b64 v[4:5], v6 offset:4992
	s_waitcnt lgkmcnt(0)
	v_dual_sub_f32 v9, v0, v4 :: v_dual_add_f32 v10, v1, v5
	v_dual_sub_f32 v1, v1, v5 :: v_dual_add_f32 v0, v0, v4
	s_delay_alu instid0(VALU_DEP_2) | instskip(NEXT) | instid1(VALU_DEP_3)
	v_mul_f32_e32 v5, 0.5, v9
	v_mul_f32_e32 v9, 0.5, v10
	s_delay_alu instid0(VALU_DEP_3) | instskip(SKIP_1) | instid1(VALU_DEP_3)
	v_mul_f32_e32 v1, 0.5, v1
	s_waitcnt vmcnt(4)
	v_mul_f32_e32 v4, v12, v5
	s_delay_alu instid0(VALU_DEP_2) | instskip(SKIP_1) | instid1(VALU_DEP_3)
	v_fma_f32 v10, v9, v12, v1
	v_fma_f32 v1, v9, v12, -v1
	v_fma_f32 v12, 0.5, v0, v4
	v_fma_f32 v0, v0, 0.5, -v4
	s_delay_alu instid0(VALU_DEP_4) | instskip(NEXT) | instid1(VALU_DEP_4)
	v_fma_f32 v4, -v11, v5, v10
	v_fma_f32 v1, -v11, v5, v1
	s_delay_alu instid0(VALU_DEP_4) | instskip(NEXT) | instid1(VALU_DEP_4)
	v_fmac_f32_e32 v12, v11, v9
	;; [unrolled: 25-line block ×4, first 2 shown]
	v_fma_f32 v0, -v15, v9, v0
	ds_store_2addr_b32 v29, v11, v4 offset1:1
	ds_store_b64 v6, v[0:1] offset:4224
	ds_load_b64 v[0:1], v48 offset:2304
	ds_load_b64 v[4:5], v6 offset:3840
	s_waitcnt lgkmcnt(0)
	v_dual_sub_f32 v9, v0, v4 :: v_dual_add_f32 v10, v1, v5
	v_dual_sub_f32 v1, v1, v5 :: v_dual_add_f32 v0, v0, v4
	s_delay_alu instid0(VALU_DEP_2) | instskip(NEXT) | instid1(VALU_DEP_3)
	v_mul_f32_e32 v5, 0.5, v9
	v_mul_f32_e32 v9, 0.5, v10
	s_delay_alu instid0(VALU_DEP_3) | instskip(SKIP_1) | instid1(VALU_DEP_3)
	v_mul_f32_e32 v1, 0.5, v1
	s_waitcnt vmcnt(1)
	v_mul_f32_e32 v4, v20, v5
	s_delay_alu instid0(VALU_DEP_2) | instskip(SKIP_1) | instid1(VALU_DEP_3)
	v_fma_f32 v10, v9, v20, v1
	v_fma_f32 v1, v9, v20, -v1
	v_fma_f32 v11, 0.5, v0, v4
	v_fma_f32 v4, v0, 0.5, -v4
	v_add_nc_u32_e32 v0, 0x800, v48
	v_fma_f32 v10, -v19, v5, v10
	v_fma_f32 v5, -v19, v5, v1
	v_fmac_f32_e32 v11, v19, v9
	v_fma_f32 v4, -v19, v9, v4
	ds_store_2addr_b32 v0, v11, v10 offset0:64 offset1:65
	ds_store_b64 v6, v[4:5] offset:3840
	ds_load_b64 v[4:5], v48 offset:2688
	ds_load_b64 v[9:10], v6 offset:3456
	s_waitcnt lgkmcnt(0)
	v_sub_f32_e32 v1, v4, v9
	v_dual_add_f32 v11, v5, v10 :: v_dual_add_f32 v4, v4, v9
	v_sub_f32_e32 v5, v5, v10
	s_delay_alu instid0(VALU_DEP_2) | instskip(NEXT) | instid1(VALU_DEP_2)
	v_dual_mul_f32 v1, 0.5, v1 :: v_dual_mul_f32 v10, 0.5, v11
	v_mul_f32_e32 v5, 0.5, v5
	s_waitcnt vmcnt(0)
	s_delay_alu instid0(VALU_DEP_2) | instskip(NEXT) | instid1(VALU_DEP_2)
	v_mul_f32_e32 v9, v8, v1
	v_fma_f32 v11, v10, v8, v5
	v_fma_f32 v5, v10, v8, -v5
	s_delay_alu instid0(VALU_DEP_3) | instskip(SKIP_1) | instid1(VALU_DEP_4)
	v_fma_f32 v8, 0.5, v4, v9
	v_fma_f32 v4, v4, 0.5, -v9
	v_fma_f32 v9, -v7, v1, v11
	s_delay_alu instid0(VALU_DEP_4) | instskip(NEXT) | instid1(VALU_DEP_4)
	v_fma_f32 v5, -v7, v1, v5
	v_fmac_f32_e32 v8, v7, v10
	s_delay_alu instid0(VALU_DEP_4)
	v_fma_f32 v4, -v7, v10, v4
	ds_store_2addr_b32 v0, v8, v9 offset0:160 offset1:161
	ds_store_b64 v6, v[4:5] offset:3456
	s_waitcnt lgkmcnt(0)
	s_barrier
	buffer_gl0_inv
	s_and_saveexec_b32 s0, vcc_lo
	s_cbranch_execz .LBB0_24
; %bb.22:
	ds_load_2addr_b64 v[5:8], v48 offset1:48
	ds_load_2addr_b64 v[9:12], v48 offset0:96 offset1:144
	ds_load_2addr_b64 v[13:16], v48 offset0:192 offset1:240
	ds_load_2addr_b64 v[17:20], v0 offset0:32 offset1:80
	v_add_co_u32 v1, vcc_lo, s8, v30
	v_add_co_ci_u32_e32 v4, vcc_lo, s9, v31, vcc_lo
	v_add_nc_u32_e32 v21, 0xc00, v48
	s_delay_alu instid0(VALU_DEP_3) | instskip(NEXT) | instid1(VALU_DEP_3)
	v_add_co_u32 v2, vcc_lo, v1, v2
	v_add_co_ci_u32_e32 v3, vcc_lo, v4, v3, vcc_lo
	ds_load_2addr_b64 v[30:33], v0 offset0:128 offset1:176
	v_dual_mov_b32 v29, v27 :: v_dual_add_nc_u32 v0, 0x1000, v48
	ds_load_2addr_b64 v[34:37], v21 offset0:96 offset1:144
	s_waitcnt lgkmcnt(5)
	s_clause 0x1
	global_store_b64 v[2:3], v[5:6], off
	global_store_b64 v[2:3], v[7:8], off offset:384
	s_waitcnt lgkmcnt(4)
	s_clause 0x1
	global_store_b64 v[2:3], v[9:10], off offset:768
	global_store_b64 v[2:3], v[11:12], off offset:1152
	ds_load_2addr_b64 v[5:8], v0 offset0:64 offset1:112
	ds_load_2addr_b64 v[9:12], v0 offset0:160 offset1:208
	s_waitcnt lgkmcnt(5)
	s_clause 0x1
	global_store_b64 v[2:3], v[13:14], off offset:1536
	global_store_b64 v[2:3], v[15:16], off offset:1920
	s_waitcnt lgkmcnt(4)
	s_clause 0x1
	global_store_b64 v[2:3], v[17:18], off offset:2304
	global_store_b64 v[2:3], v[19:20], off offset:2688
	v_lshlrev_b64 v[13:14], 3, v[28:29]
	v_add_co_u32 v15, vcc_lo, 0x1000, v2
	v_add_co_ci_u32_e32 v16, vcc_lo, 0, v3, vcc_lo
	s_waitcnt lgkmcnt(3)
	s_clause 0x1
	global_store_b64 v[2:3], v[30:31], off offset:3072
	global_store_b64 v[2:3], v[32:33], off offset:3456
	s_waitcnt lgkmcnt(2)
	s_clause 0x1
	global_store_b64 v[2:3], v[34:35], off offset:3840
	global_store_b64 v[15:16], v[36:37], off offset:128
	v_add_co_u32 v13, vcc_lo, v1, v13
	v_add_co_ci_u32_e32 v14, vcc_lo, v4, v14, vcc_lo
	v_cmp_eq_u32_e32 vcc_lo, 47, v24
	s_waitcnt lgkmcnt(1)
	s_clause 0x1
	global_store_b64 v[13:14], v[5:6], off
	global_store_b64 v[15:16], v[7:8], off offset:896
	s_waitcnt lgkmcnt(0)
	s_clause 0x1
	global_store_b64 v[15:16], v[9:10], off offset:1280
	global_store_b64 v[15:16], v[11:12], off offset:1664
	s_and_b32 exec_lo, exec_lo, vcc_lo
	s_cbranch_execz .LBB0_24
; %bb.23:
	v_mov_b32_e32 v0, 0
	ds_load_b64 v[2:3], v0 offset:6144
	v_add_co_u32 v0, vcc_lo, 0x1000, v1
	v_add_co_ci_u32_e32 v1, vcc_lo, 0, v4, vcc_lo
	s_waitcnt lgkmcnt(0)
	global_store_b64 v[0:1], v[2:3], off offset:2048
.LBB0_24:
	s_nop 0
	s_sendmsg sendmsg(MSG_DEALLOC_VGPRS)
	s_endpgm
	.section	.rodata,"a",@progbits
	.p2align	6, 0x0
	.amdhsa_kernel fft_rtc_back_len768_factors_16_3_16_wgs_48_tpt_48_halfLds_sp_ip_CI_unitstride_sbrr_R2C_dirReg
		.amdhsa_group_segment_fixed_size 0
		.amdhsa_private_segment_fixed_size 0
		.amdhsa_kernarg_size 88
		.amdhsa_user_sgpr_count 15
		.amdhsa_user_sgpr_dispatch_ptr 0
		.amdhsa_user_sgpr_queue_ptr 0
		.amdhsa_user_sgpr_kernarg_segment_ptr 1
		.amdhsa_user_sgpr_dispatch_id 0
		.amdhsa_user_sgpr_private_segment_size 0
		.amdhsa_wavefront_size32 1
		.amdhsa_uses_dynamic_stack 0
		.amdhsa_enable_private_segment 0
		.amdhsa_system_sgpr_workgroup_id_x 1
		.amdhsa_system_sgpr_workgroup_id_y 0
		.amdhsa_system_sgpr_workgroup_id_z 0
		.amdhsa_system_sgpr_workgroup_info 0
		.amdhsa_system_vgpr_workitem_id 0
		.amdhsa_next_free_vgpr 90
		.amdhsa_next_free_sgpr 21
		.amdhsa_reserve_vcc 1
		.amdhsa_float_round_mode_32 0
		.amdhsa_float_round_mode_16_64 0
		.amdhsa_float_denorm_mode_32 3
		.amdhsa_float_denorm_mode_16_64 3
		.amdhsa_dx10_clamp 1
		.amdhsa_ieee_mode 1
		.amdhsa_fp16_overflow 0
		.amdhsa_workgroup_processor_mode 1
		.amdhsa_memory_ordered 1
		.amdhsa_forward_progress 0
		.amdhsa_shared_vgpr_count 0
		.amdhsa_exception_fp_ieee_invalid_op 0
		.amdhsa_exception_fp_denorm_src 0
		.amdhsa_exception_fp_ieee_div_zero 0
		.amdhsa_exception_fp_ieee_overflow 0
		.amdhsa_exception_fp_ieee_underflow 0
		.amdhsa_exception_fp_ieee_inexact 0
		.amdhsa_exception_int_div_zero 0
	.end_amdhsa_kernel
	.text
.Lfunc_end0:
	.size	fft_rtc_back_len768_factors_16_3_16_wgs_48_tpt_48_halfLds_sp_ip_CI_unitstride_sbrr_R2C_dirReg, .Lfunc_end0-fft_rtc_back_len768_factors_16_3_16_wgs_48_tpt_48_halfLds_sp_ip_CI_unitstride_sbrr_R2C_dirReg
                                        ; -- End function
	.section	.AMDGPU.csdata,"",@progbits
; Kernel info:
; codeLenInByte = 7992
; NumSgprs: 23
; NumVgprs: 90
; ScratchSize: 0
; MemoryBound: 0
; FloatMode: 240
; IeeeMode: 1
; LDSByteSize: 0 bytes/workgroup (compile time only)
; SGPRBlocks: 2
; VGPRBlocks: 11
; NumSGPRsForWavesPerEU: 23
; NumVGPRsForWavesPerEU: 90
; Occupancy: 16
; WaveLimiterHint : 1
; COMPUTE_PGM_RSRC2:SCRATCH_EN: 0
; COMPUTE_PGM_RSRC2:USER_SGPR: 15
; COMPUTE_PGM_RSRC2:TRAP_HANDLER: 0
; COMPUTE_PGM_RSRC2:TGID_X_EN: 1
; COMPUTE_PGM_RSRC2:TGID_Y_EN: 0
; COMPUTE_PGM_RSRC2:TGID_Z_EN: 0
; COMPUTE_PGM_RSRC2:TIDIG_COMP_CNT: 0
	.text
	.p2alignl 7, 3214868480
	.fill 96, 4, 3214868480
	.type	__hip_cuid_30ba61bda00e6dbc,@object ; @__hip_cuid_30ba61bda00e6dbc
	.section	.bss,"aw",@nobits
	.globl	__hip_cuid_30ba61bda00e6dbc
__hip_cuid_30ba61bda00e6dbc:
	.byte	0                               ; 0x0
	.size	__hip_cuid_30ba61bda00e6dbc, 1

	.ident	"AMD clang version 19.0.0git (https://github.com/RadeonOpenCompute/llvm-project roc-6.4.0 25133 c7fe45cf4b819c5991fe208aaa96edf142730f1d)"
	.section	".note.GNU-stack","",@progbits
	.addrsig
	.addrsig_sym __hip_cuid_30ba61bda00e6dbc
	.amdgpu_metadata
---
amdhsa.kernels:
  - .args:
      - .actual_access:  read_only
        .address_space:  global
        .offset:         0
        .size:           8
        .value_kind:     global_buffer
      - .offset:         8
        .size:           8
        .value_kind:     by_value
      - .actual_access:  read_only
        .address_space:  global
        .offset:         16
        .size:           8
        .value_kind:     global_buffer
      - .actual_access:  read_only
        .address_space:  global
        .offset:         24
        .size:           8
        .value_kind:     global_buffer
      - .offset:         32
        .size:           8
        .value_kind:     by_value
      - .actual_access:  read_only
        .address_space:  global
        .offset:         40
        .size:           8
        .value_kind:     global_buffer
      - .actual_access:  read_only
        .address_space:  global
        .offset:         48
        .size:           8
        .value_kind:     global_buffer
      - .offset:         56
        .size:           4
        .value_kind:     by_value
      - .actual_access:  read_only
        .address_space:  global
        .offset:         64
        .size:           8
        .value_kind:     global_buffer
      - .actual_access:  read_only
        .address_space:  global
        .offset:         72
        .size:           8
        .value_kind:     global_buffer
      - .address_space:  global
        .offset:         80
        .size:           8
        .value_kind:     global_buffer
    .group_segment_fixed_size: 0
    .kernarg_segment_align: 8
    .kernarg_segment_size: 88
    .language:       OpenCL C
    .language_version:
      - 2
      - 0
    .max_flat_workgroup_size: 48
    .name:           fft_rtc_back_len768_factors_16_3_16_wgs_48_tpt_48_halfLds_sp_ip_CI_unitstride_sbrr_R2C_dirReg
    .private_segment_fixed_size: 0
    .sgpr_count:     23
    .sgpr_spill_count: 0
    .symbol:         fft_rtc_back_len768_factors_16_3_16_wgs_48_tpt_48_halfLds_sp_ip_CI_unitstride_sbrr_R2C_dirReg.kd
    .uniform_work_group_size: 1
    .uses_dynamic_stack: false
    .vgpr_count:     90
    .vgpr_spill_count: 0
    .wavefront_size: 32
    .workgroup_processor_mode: 1
amdhsa.target:   amdgcn-amd-amdhsa--gfx1100
amdhsa.version:
  - 1
  - 2
...

	.end_amdgpu_metadata
